;; amdgpu-corpus repo=ROCm/rocFFT kind=compiled arch=gfx1100 opt=O3
	.text
	.amdgcn_target "amdgcn-amd-amdhsa--gfx1100"
	.amdhsa_code_object_version 6
	.protected	fft_rtc_fwd_len50_factors_10_5_wgs_50_tpt_5_dp_op_CI_CI_sbrc_z_xy_aligned ; -- Begin function fft_rtc_fwd_len50_factors_10_5_wgs_50_tpt_5_dp_op_CI_CI_sbrc_z_xy_aligned
	.globl	fft_rtc_fwd_len50_factors_10_5_wgs_50_tpt_5_dp_op_CI_CI_sbrc_z_xy_aligned
	.p2align	8
	.type	fft_rtc_fwd_len50_factors_10_5_wgs_50_tpt_5_dp_op_CI_CI_sbrc_z_xy_aligned,@function
fft_rtc_fwd_len50_factors_10_5_wgs_50_tpt_5_dp_op_CI_CI_sbrc_z_xy_aligned: ; @fft_rtc_fwd_len50_factors_10_5_wgs_50_tpt_5_dp_op_CI_CI_sbrc_z_xy_aligned
; %bb.0:
	s_load_b256 s[4:11], s[0:1], 0x0
	s_mov_b32 s28, 0x9b97f4a8
	s_mov_b32 s29, 0x3fe9e377
	s_waitcnt lgkmcnt(0)
	s_load_b128 s[16:19], s[8:9], 0x8
	s_load_b128 s[20:23], s[10:11], 0x0
	s_waitcnt lgkmcnt(0)
	s_add_i32 s2, s16, -1
	s_delay_alu instid0(SALU_CYCLE_1) | instskip(NEXT) | instid1(SALU_CYCLE_1)
	s_mul_hi_u32 s2, s2, 0xcccccccd
	s_lshr_b32 s8, s2, 3
	s_delay_alu instid0(SALU_CYCLE_1) | instskip(NEXT) | instid1(SALU_CYCLE_1)
	s_add_i32 s9, s8, 1
	s_mul_i32 s12, s9, s18
	v_cvt_f32_u32_e32 v2, s9
	v_cvt_f32_u32_e32 v1, s12
	s_sub_i32 s3, 0, s12
	s_delay_alu instid0(VALU_DEP_2) | instskip(NEXT) | instid1(VALU_DEP_1)
	v_rcp_iflag_f32_e32 v3, v2
	v_rcp_iflag_f32_e32 v1, v1
	s_waitcnt_depctr 0xfff
	v_dual_mov_b32 v2, 0 :: v_dual_mul_f32 v1, 0x4f7ffffe, v1
	s_delay_alu instid0(VALU_DEP_1) | instskip(NEXT) | instid1(VALU_DEP_1)
	v_cvt_u32_f32_e32 v1, v1
	v_readfirstlane_b32 s2, v1
	v_mul_f32_e32 v1, 0x4f7ffffe, v3
	v_mul_u32_u24_e32 v3, 0x51f, v0
	s_delay_alu instid0(VALU_DEP_3) | instskip(NEXT) | instid1(VALU_DEP_2)
	s_mul_i32 s3, s3, s2
	v_cvt_u32_f32_e32 v1, v1
	s_mul_hi_u32 s3, s2, s3
	s_delay_alu instid0(VALU_DEP_2) | instskip(SKIP_1) | instid1(VALU_DEP_2)
	v_lshrrev_b32_e32 v44, 16, v3
	s_add_i32 s2, s2, s3
	v_readfirstlane_b32 s16, v1
	s_mul_hi_u32 s2, s15, s2
	s_delay_alu instid0(VALU_DEP_2) | instskip(SKIP_3) | instid1(SALU_CYCLE_1)
	v_mul_lo_u16 v7, v44, 50
	s_mul_i32 s3, s2, s12
	s_add_i32 s13, s2, 1
	s_sub_i32 s3, s15, s3
	s_sub_i32 s14, s3, s12
	s_cmp_ge_u32 s3, s12
	v_sub_nc_u16 v9, v0, v7
	s_cselect_b32 s13, s13, s2
	s_cselect_b32 s2, s14, s3
	s_add_i32 s14, s13, 1
	s_cmp_ge_u32 s2, s12
	s_load_b64 s[2:3], s[0:1], 0x20
	s_cselect_b32 s24, s14, s13
	s_not_b32 s8, s8
	s_mul_i32 s12, s24, s12
	s_mul_i32 s8, s8, s16
	s_sub_i32 s12, s15, s12
	s_mul_hi_u32 s8, s16, s8
	s_load_b32 s13, s[10:11], 0x10
	s_add_i32 s16, s16, s8
	v_mul_lo_u32 v1, s22, v44
	s_mul_hi_u32 s8, s12, s16
	s_mul_hi_u32 s23, s15, s16
	s_mul_i32 s14, s8, s9
	s_mul_i32 s23, s23, s9
	s_sub_i32 s12, s12, s14
	s_add_i32 s14, s8, 1
	s_sub_i32 s17, s12, s9
	s_cmp_ge_u32 s12, s9
	v_lshlrev_b64 v[3:4], 4, v[1:2]
	s_cselect_b32 s12, s17, s12
	s_waitcnt lgkmcnt(0)
	s_clause 0x1
	s_load_b128 s[16:19], s[2:3], 0x0
	s_load_b32 s26, s[2:3], 0x10
	s_cselect_b32 s8, s14, s8
	v_add_nc_u32_e32 v1, s22, v1
	s_add_i32 s14, s8, 1
	s_cmp_ge_u32 s12, s9
	v_and_b32_e32 v45, 0xffff, v9
	s_waitcnt lgkmcnt(0)
	s_cselect_b32 s19, s14, s8
	s_sub_i32 s8, s15, s23
	v_lshlrev_b64 v[5:6], 4, v[1:2]
	s_sub_i32 s12, s8, s9
	s_cmp_ge_u32 s8, s9
	v_add_nc_u32_e32 v1, s22, v1
	s_cselect_b32 s8, s12, s8
	v_mad_u64_u32 v[11:12], null, s20, v45, 0
	s_sub_i32 s12, s8, s9
	s_cmp_ge_u32 s8, s9
	v_lshlrev_b64 v[7:8], 4, v[1:2]
	s_cselect_b32 s25, s12, s8
	s_mul_i32 s8, s19, s13
	s_mul_i32 s25, s25, 10
	s_lshl_b64 s[14:15], s[6:7], 3
	s_mul_i32 s6, s25, s22
	s_mul_i32 s7, s17, s25
	s_mul_hi_u32 s9, s16, s25
	s_add_i32 s8, s6, s8
	s_add_i32 s7, s9, s7
	s_add_u32 s10, s10, s14
	s_addc_u32 s11, s11, s15
	v_add_nc_u32_e32 v1, s22, v1
	s_load_b64 s[12:13], s[10:11], 0x0
	v_mul_u32_u24_e32 v44, 0x320, v44
	s_mov_b32 s23, 0xbfee6f0e
	s_delay_alu instid0(VALU_DEP_2) | instskip(SKIP_1) | instid1(VALU_DEP_1)
	v_lshlrev_b64 v[9:10], 4, v[1:2]
	v_add_nc_u32_e32 v1, s22, v1
	v_lshlrev_b64 v[13:14], 4, v[1:2]
	v_add_nc_u32_e32 v1, s22, v1
	s_delay_alu instid0(VALU_DEP_2) | instskip(NEXT) | instid1(VALU_DEP_2)
	v_mad_u64_u32 v[17:18], null, s21, v45, v[12:13]
	v_lshlrev_b64 v[15:16], 4, v[1:2]
	v_add_nc_u32_e32 v1, s22, v1
	s_waitcnt lgkmcnt(0)
	s_mul_i32 s6, s13, s24
	s_mul_hi_u32 s9, s12, s24
	s_mul_i32 s12, s12, s24
	s_add_i32 s13, s9, s6
	s_add_u32 s2, s2, s14
	s_addc_u32 s3, s3, s15
	v_mov_b32_e32 v12, v17
	s_load_b64 s[10:11], s[2:3], 0x0
	s_load_b128 s[0:3], s[0:1], 0x58
	s_lshl_b64 s[12:13], s[12:13], 4
	s_mov_b32 s9, 0
	v_lshlrev_b64 v[11:12], 4, v[11:12]
	v_lshlrev_b64 v[18:19], 4, v[1:2]
	v_add_nc_u32_e32 v1, s22, v1
	v_lshlrev_b32_e32 v45, 4, v45
	s_mov_b32 s20, 0x134454ff
	s_mov_b32 s21, 0x3fee6f0e
	;; [unrolled: 1-line block ×3, first 2 shown]
	v_lshlrev_b64 v[20:21], 4, v[1:2]
	v_add_nc_u32_e32 v1, s22, v1
	v_add3_u32 v44, 0, v44, v45
	s_delay_alu instid0(VALU_DEP_2) | instskip(SKIP_1) | instid1(VALU_DEP_3)
	v_lshlrev_b64 v[22:23], 4, v[1:2]
	v_add_nc_u32_e32 v1, s22, v1
	v_add_nc_u32_e32 v45, 0x800, v44
	s_waitcnt lgkmcnt(0)
	s_mul_i32 s6, s11, s24
	s_mul_hi_u32 s11, s10, s24
	v_add_nc_u32_e32 v47, 0x1800, v44
	s_add_i32 s11, s11, s6
	s_add_u32 s6, s0, s12
	s_addc_u32 s12, s1, s13
	s_lshl_b64 s[0:1], s[8:9], 4
	s_mov_b32 s22, s20
	s_add_u32 s0, s6, s0
	s_addc_u32 s1, s12, s1
	v_add_co_u32 v17, vcc_lo, s0, v11
	v_add_co_ci_u32_e32 v41, vcc_lo, s1, v12, vcc_lo
	v_lshlrev_b64 v[11:12], 4, v[1:2]
	s_delay_alu instid0(VALU_DEP_3) | instskip(NEXT) | instid1(VALU_DEP_3)
	v_add_co_u32 v3, vcc_lo, v17, v3
	v_add_co_ci_u32_e32 v4, vcc_lo, v41, v4, vcc_lo
	v_add_co_u32 v24, vcc_lo, v17, v5
	v_add_co_ci_u32_e32 v25, vcc_lo, v41, v6, vcc_lo
	;; [unrolled: 2-line block ×10, first 2 shown]
	s_clause 0x9
	global_load_b128 v[4:7], v[3:4], off
	global_load_b128 v[8:11], v[24:25], off
	global_load_b128 v[12:15], v[26:27], off
	global_load_b128 v[16:19], v[28:29], off
	global_load_b128 v[20:23], v[30:31], off
	global_load_b128 v[24:27], v[32:33], off
	global_load_b128 v[28:31], v[34:35], off
	global_load_b128 v[32:35], v[36:37], off
	global_load_b128 v[36:39], v[38:39], off
	global_load_b128 v[40:43], v[40:41], off
	v_mul_u32_u24_e32 v1, 0x3334, v0
	s_mov_b32 s12, 0x4755a5e
	s_mov_b32 s13, 0x3fe2cf23
	;; [unrolled: 1-line block ×4, first 2 shown]
	v_lshrrev_b32_e32 v1, 16, v1
	s_mov_b32 s1, 0x3fd3c6ef
	s_mul_i32 s6, s16, s25
	s_mul_i32 s8, s19, s18
	;; [unrolled: 1-line block ×3, first 2 shown]
	v_add_nc_u32_e32 v3, s25, v1
	v_mul_lo_u16 v1, v1, 5
	s_delay_alu instid0(VALU_DEP_2) | instskip(NEXT) | instid1(VALU_DEP_2)
	v_mul_hi_u32 v46, 0xcccccccd, v3
	v_sub_nc_u16 v1, v0, v1
	s_delay_alu instid0(VALU_DEP_1) | instskip(NEXT) | instid1(VALU_DEP_3)
	v_and_b32_e32 v1, 0xffff, v1
	v_lshrrev_b32_e32 v46, 3, v46
	s_delay_alu instid0(VALU_DEP_2) | instskip(NEXT) | instid1(VALU_DEP_2)
	v_lshlrev_b32_e32 v61, 4, v1
	v_mul_lo_u32 v46, v46, 10
	s_delay_alu instid0(VALU_DEP_1)
	v_sub_nc_u32_e32 v3, v3, v46
	v_add_nc_u32_e32 v46, 0x1000, v44
	s_waitcnt vmcnt(9)
	ds_store_b128 v44, v[4:7]
	s_waitcnt vmcnt(8)
	ds_store_b128 v44, v[8:11] offset:800
	s_waitcnt vmcnt(7)
	ds_store_b128 v44, v[12:15] offset:1600
	;; [unrolled: 2-line block ×3, first 2 shown]
	s_waitcnt vmcnt(5)
	ds_store_2addr_b64 v45, v[20:21], v[22:23] offset0:144 offset1:145
	s_waitcnt vmcnt(4)
	ds_store_2addr_b64 v45, v[24:25], v[26:27] offset0:244 offset1:245
	;; [unrolled: 2-line block ×6, first 2 shown]
	v_mul_u32_u24_e32 v3, 50, v3
	s_waitcnt lgkmcnt(0)
	s_barrier
	buffer_gl0_inv
	v_lshlrev_b32_e32 v62, 4, v3
	s_delay_alu instid0(VALU_DEP_1)
	v_add3_u32 v3, 0, v61, v62
	ds_load_b128 v[5:8], v3 offset:400
	ds_load_b128 v[9:12], v3 offset:560
	ds_load_b128 v[13:16], v3 offset:240
	ds_load_b128 v[17:20], v3 offset:720
	ds_load_b128 v[21:24], v3 offset:80
	ds_load_b128 v[25:28], v3 offset:160
	v_add3_u32 v4, 0, v62, v61
	s_waitcnt lgkmcnt(4)
	v_add_f64 v[29:30], v[5:6], v[9:10]
	v_add_f64 v[45:46], v[7:8], v[11:12]
	s_waitcnt lgkmcnt(2)
	v_add_f64 v[41:42], v[15:16], v[19:20]
	v_add_f64 v[43:44], v[13:14], v[17:18]
	v_add_f64 v[47:48], v[15:16], -v[19:20]
	v_add_f64 v[53:54], v[5:6], -v[9:10]
	;; [unrolled: 1-line block ×8, first 2 shown]
	s_waitcnt lgkmcnt(1)
	v_add_f64 v[13:14], v[21:22], v[13:14]
	v_add_f64 v[79:80], v[11:12], -v[19:20]
	v_add_f64 v[85:86], v[19:20], -v[11:12]
	v_fma_f64 v[49:50], v[29:30], -0.5, v[21:22]
	v_fma_f64 v[45:46], v[45:46], -0.5, v[23:24]
	;; [unrolled: 1-line block ×4, first 2 shown]
	ds_load_b128 v[29:32], v3 offset:320
	ds_load_b128 v[33:36], v3 offset:480
	;; [unrolled: 1-line block ×3, first 2 shown]
	v_add_f64 v[21:22], v[23:24], v[15:16]
	v_add_f64 v[23:24], v[7:8], -v[15:16]
	v_add_f64 v[15:16], v[15:16], -v[7:8]
	ds_load_b128 v[41:44], v4
	v_add_f64 v[69:70], v[69:70], v[71:72]
	s_waitcnt lgkmcnt(0)
	v_add_f64 v[73:74], v[73:74], v[75:76]
	v_add_f64 v[5:6], v[13:14], v[5:6]
	s_barrier
	buffer_gl0_inv
	v_add_f64 v[61:62], v[29:30], v[33:34]
	v_add_f64 v[63:64], v[25:26], v[37:38]
	;; [unrolled: 1-line block ×4, first 2 shown]
	v_add_f64 v[71:72], v[31:32], -v[35:36]
	v_add_f64 v[89:90], v[41:42], v[25:26]
	v_add_f64 v[75:76], v[25:26], -v[37:38]
	v_fma_f64 v[77:78], v[47:48], s[20:21], v[49:50]
	v_fma_f64 v[49:50], v[47:48], s[22:23], v[49:50]
	;; [unrolled: 1-line block ×8, first 2 shown]
	v_add_f64 v[23:24], v[23:24], v[79:80]
	v_add_f64 v[15:16], v[15:16], v[85:86]
	v_add_f64 v[85:86], v[27:28], -v[31:32]
	v_add_f64 v[7:8], v[21:22], v[7:8]
	v_add_f64 v[5:6], v[5:6], v[9:10]
	v_fma_f64 v[61:62], v[61:62], -0.5, v[41:42]
	v_fma_f64 v[41:42], v[63:64], -0.5, v[41:42]
	;; [unrolled: 1-line block ×4, first 2 shown]
	v_add_f64 v[43:44], v[43:44], v[27:28]
	v_add_f64 v[67:68], v[27:28], -v[39:40]
	v_add_f64 v[27:28], v[31:32], -v[27:28]
	v_fma_f64 v[77:78], v[51:52], s[12:13], v[77:78]
	v_fma_f64 v[49:50], v[51:52], s[14:15], v[49:50]
	v_add_f64 v[51:52], v[29:30], -v[33:34]
	v_fma_f64 v[79:80], v[59:60], s[14:15], v[81:82]
	v_fma_f64 v[81:82], v[47:48], s[14:15], v[83:84]
	;; [unrolled: 1-line block ×5, first 2 shown]
	v_add_f64 v[59:60], v[25:26], -v[29:30]
	v_add_f64 v[25:26], v[29:30], -v[25:26]
	v_add_f64 v[29:30], v[89:90], v[29:30]
	v_add_f64 v[83:84], v[37:38], -v[33:34]
	v_add_f64 v[89:90], v[35:36], -v[39:40]
	v_fma_f64 v[45:46], v[53:54], s[14:15], v[45:46]
	v_add_f64 v[87:88], v[33:34], -v[37:38]
	v_add_f64 v[7:8], v[7:8], v[11:12]
	v_add_f64 v[17:18], v[5:6], v[17:18]
	v_fma_f64 v[53:54], v[75:76], s[22:23], v[63:64]
	v_fma_f64 v[63:64], v[75:76], s[20:21], v[63:64]
	v_add_f64 v[31:32], v[43:44], v[31:32]
	v_add_f64 v[43:44], v[39:40], -v[35:36]
	v_fma_f64 v[13:14], v[67:68], s[20:21], v[61:62]
	v_fma_f64 v[21:22], v[67:68], s[22:23], v[61:62]
	;; [unrolled: 1-line block ×13, first 2 shown]
	v_add_f64 v[29:30], v[29:30], v[33:34]
	v_add_f64 v[57:58], v[59:60], v[83:84]
	;; [unrolled: 1-line block ×3, first 2 shown]
	v_fma_f64 v[15:16], v[15:16], s[0:1], v[45:46]
	v_add_f64 v[25:26], v[25:26], v[87:88]
	v_add_f64 v[19:20], v[7:8], v[19:20]
	v_fma_f64 v[33:34], v[51:52], s[14:15], v[53:54]
	v_add_f64 v[31:32], v[31:32], v[35:36]
	v_add_f64 v[43:44], v[85:86], v[43:44]
	v_fma_f64 v[9:10], v[71:72], s[12:13], v[13:14]
	v_fma_f64 v[11:12], v[71:72], s[14:15], v[21:22]
	;; [unrolled: 1-line block ×5, first 2 shown]
	v_mul_f64 v[45:46], v[77:78], s[28:29]
	v_mul_f64 v[63:64], v[77:78], s[14:15]
	v_fma_f64 v[41:42], v[75:76], s[14:15], v[69:70]
	v_mul_f64 v[53:54], v[79:80], s[20:21]
	v_fma_f64 v[51:52], v[75:76], s[12:13], v[65:66]
	v_mul_f64 v[61:62], v[49:50], s[28:29]
	v_mul_f64 v[65:66], v[47:48], s[22:23]
	;; [unrolled: 1-line block ×5, first 2 shown]
	v_add_f64 v[29:30], v[29:30], v[37:38]
	v_add_f64 v[31:32], v[31:32], v[39:40]
	v_fma_f64 v[73:74], v[43:44], s[0:1], v[33:34]
	v_fma_f64 v[37:38], v[57:58], s[0:1], v[9:10]
	;; [unrolled: 1-line block ×10, first 2 shown]
	v_fma_f64 v[47:48], v[55:56], s[12:13], -v[61:62]
	v_fma_f64 v[55:56], v[79:80], s[0:1], v[65:66]
	v_fma_f64 v[51:52], v[27:28], s[0:1], v[51:52]
	v_fma_f64 v[45:46], v[23:24], s[20:21], -v[59:60]
	v_fma_f64 v[59:60], v[81:82], s[22:23], -v[67:68]
	;; [unrolled: 1-line block ×3, first 2 shown]
	v_add_f64 v[5:6], v[29:30], v[17:18]
	v_add_f64 v[9:10], v[29:30], -v[17:18]
	v_mad_u32_u24 v79, 0x90, v1, v3
	s_delay_alu instid0(VALU_DEP_1)
	v_mad_i32_i24 v106, 0xffffff70, v1, v79
	v_add_f64 v[7:8], v[31:32], v[19:20]
	v_add_f64 v[11:12], v[31:32], -v[19:20]
	v_add_f64 v[13:14], v[37:38], v[33:34]
	v_add_f64 v[29:30], v[37:38], -v[33:34]
	v_add_f64 v[17:18], v[57:58], v[41:42]
	v_add_f64 v[15:16], v[73:74], v[53:54]
	;; [unrolled: 1-line block ×4, first 2 shown]
	v_add_f64 v[31:32], v[73:74], -v[53:54]
	v_add_f64 v[21:22], v[71:72], v[45:46]
	v_add_f64 v[23:24], v[51:52], v[59:60]
	v_add_f64 v[27:28], v[43:44], v[49:50]
	v_add_f64 v[33:34], v[57:58], -v[41:42]
	v_add_f64 v[35:36], v[35:36], -v[55:56]
	;; [unrolled: 1-line block ×6, first 2 shown]
	v_lshlrev_b32_e32 v45, 6, v1
	ds_store_b128 v79, v[5:8]
	ds_store_b128 v79, v[13:16] offset:16
	ds_store_b128 v79, v[17:20] offset:32
	;; [unrolled: 1-line block ×9, first 2 shown]
	s_waitcnt lgkmcnt(0)
	s_barrier
	buffer_gl0_inv
	s_clause 0x1
	global_load_b128 v[5:8], v45, s[4:5]
	global_load_b128 v[9:12], v45, s[4:5] offset:16
	v_add_nc_u32_e32 v33, 0x140, v45
	s_clause 0x5
	global_load_b128 v[13:16], v45, s[4:5] offset:32
	global_load_b128 v[17:20], v45, s[4:5] offset:48
	global_load_b128 v[21:24], v33, s[4:5]
	global_load_b128 v[25:28], v33, s[4:5] offset:16
	global_load_b128 v[29:32], v33, s[4:5] offset:32
	;; [unrolled: 1-line block ×3, first 2 shown]
	ds_load_b128 v[37:40], v3 offset:160
	ds_load_b128 v[41:44], v3 offset:320
	;; [unrolled: 1-line block ×8, first 2 shown]
	s_lshl_b64 s[4:5], s[6:7], 4
	s_delay_alu instid0(SALU_CYCLE_1) | instskip(SKIP_2) | instid1(SALU_CYCLE_1)
	s_add_u32 s4, s2, s4
	s_addc_u32 s5, s3, s5
	s_lshl_b64 s[2:3], s[8:9], 4
	s_add_u32 s4, s4, s2
	s_addc_u32 s5, s5, s3
	s_lshl_b64 s[2:3], s[10:11], 4
	s_delay_alu instid0(SALU_CYCLE_1)
	s_add_u32 s2, s4, s2
	s_addc_u32 s3, s5, s3
	s_waitcnt vmcnt(5) lgkmcnt(4)
	v_mul_f64 v[73:74], v[51:52], v[15:16]
	v_mul_f64 v[69:70], v[39:40], v[7:8]
	;; [unrolled: 1-line block ×6, first 2 shown]
	s_waitcnt vmcnt(4) lgkmcnt(3)
	v_mul_f64 v[75:76], v[55:56], v[19:20]
	v_mul_f64 v[19:20], v[53:54], v[19:20]
	s_waitcnt vmcnt(3)
	v_mul_f64 v[77:78], v[47:48], v[23:24]
	v_mul_f64 v[23:24], v[45:46], v[23:24]
	v_fma_f64 v[37:38], v[37:38], v[5:6], -v[69:70]
	v_fma_f64 v[39:40], v[39:40], v[5:6], v[7:8]
	s_waitcnt vmcnt(2) lgkmcnt(2)
	v_mul_f64 v[5:6], v[59:60], v[27:28]
	v_mul_f64 v[7:8], v[57:58], v[27:28]
	s_waitcnt vmcnt(1) lgkmcnt(1)
	v_mul_f64 v[27:28], v[63:64], v[31:32]
	s_waitcnt vmcnt(0) lgkmcnt(0)
	v_mul_f64 v[69:70], v[67:68], v[35:36]
	v_fma_f64 v[41:42], v[41:42], v[9:10], -v[71:72]
	v_fma_f64 v[43:44], v[43:44], v[9:10], v[11:12]
	v_mul_f64 v[9:10], v[61:62], v[31:32]
	v_mul_f64 v[11:12], v[65:66], v[35:36]
	v_fma_f64 v[31:32], v[49:50], v[13:14], -v[73:74]
	v_fma_f64 v[13:14], v[51:52], v[13:14], v[15:16]
	v_fma_f64 v[15:16], v[53:54], v[17:18], -v[75:76]
	v_fma_f64 v[17:18], v[55:56], v[17:18], v[19:20]
	;; [unrolled: 2-line block ×4, first 2 shown]
	v_fma_f64 v[27:28], v[61:62], v[29:30], -v[27:28]
	v_fma_f64 v[35:36], v[65:66], v[33:34], -v[69:70]
	v_mul_u32_u24_e32 v5, 0x199a, v0
	v_add_f64 v[69:70], v[41:42], -v[37:38]
	v_fma_f64 v[29:30], v[63:64], v[29:30], v[9:10]
	v_fma_f64 v[33:34], v[67:68], v[33:34], v[11:12]
	ds_load_b128 v[8:11], v106 offset:80
	v_lshrrev_b32_e32 v12, 16, v5
	v_add_f64 v[45:46], v[41:42], v[31:32]
	v_add_f64 v[49:50], v[37:38], v[15:16]
	;; [unrolled: 1-line block ×4, first 2 shown]
	v_mul_lo_u16 v5, v12, 10
	v_lshlrev_b32_e32 v78, 4, v12
	v_add_f64 v[71:72], v[31:32], -v[15:16]
	v_add_f64 v[65:66], v[37:38], -v[41:42]
	;; [unrolled: 1-line block ×3, first 2 shown]
	v_sub_nc_u16 v0, v0, v5
	ds_load_b128 v[4:7], v4
	v_add_f64 v[80:81], v[39:40], -v[17:18]
	v_add_f64 v[84:85], v[39:40], -v[43:44]
	;; [unrolled: 1-line block ×3, first 2 shown]
	v_and_b32_e32 v77, 0xffff, v0
	v_mul_lo_u16 v0, v0, 50
	v_add_f64 v[82:83], v[43:44], -v[13:14]
	v_add_f64 v[88:89], v[41:42], -v[31:32]
	;; [unrolled: 1-line block ×3, first 2 shown]
	v_mad_u64_u32 v[47:48], null, s16, v77, 0
	v_and_b32_e32 v0, 0xffff, v0
	s_waitcnt lgkmcnt(0)
	s_barrier
	buffer_gl0_inv
	v_dual_mov_b32 v0, v48 :: v_dual_lshlrev_b32 v1, 4, v0
	v_add_f64 v[55:56], v[23:24], v[27:28]
	v_add_f64 v[57:58], v[19:20], v[35:36]
	s_delay_alu instid0(VALU_DEP_3)
	v_mad_u64_u32 v[75:76], null, s17, v77, v[0:1]
	v_add_f64 v[59:60], v[25:26], v[29:30]
	v_add_f64 v[61:62], v[21:22], v[33:34]
	;; [unrolled: 1-line block ×5, first 2 shown]
	v_add3_u32 v107, 0, v1, v78
	v_add3_u32 v108, 0, v78, v1
	v_add_f64 v[78:79], v[8:9], v[19:20]
	v_fma_f64 v[45:46], v[45:46], -0.5, v[4:5]
	v_add_f64 v[37:38], v[37:38], -v[15:16]
	v_fma_f64 v[4:5], v[49:50], -0.5, v[4:5]
	v_fma_f64 v[49:50], v[51:52], -0.5, v[6:7]
	;; [unrolled: 1-line block ×3, first 2 shown]
	v_add_f64 v[51:52], v[19:20], -v[23:24]
	v_add_f64 v[53:54], v[35:36], -v[27:28]
	;; [unrolled: 1-line block ×3, first 2 shown]
	v_mov_b32_e32 v48, v75
	v_add_f64 v[69:70], v[69:70], v[71:72]
	v_add_f64 v[71:72], v[25:26], -v[21:22]
	v_add_f64 v[65:66], v[65:66], v[67:68]
	v_add_f64 v[67:68], v[33:34], -v[29:30]
	v_add_f64 v[84:85], v[84:85], v[86:87]
	v_mul_lo_u32 v1, s26, v12
	s_mul_i32 s26, s26, 5
	v_fma_f64 v[55:56], v[55:56], -0.5, v[8:9]
	v_fma_f64 v[8:9], v[57:58], -0.5, v[8:9]
	;; [unrolled: 1-line block ×4, first 2 shown]
	v_add_f64 v[59:60], v[23:24], -v[19:20]
	v_add_f64 v[61:62], v[27:28], -v[35:36]
	v_add_f64 v[41:42], v[63:64], v[41:42]
	v_add_f64 v[63:64], v[21:22], -v[25:26]
	v_add_f64 v[43:44], v[73:74], v[43:44]
	v_add_f64 v[73:74], v[29:30], -v[33:34]
	v_add_f64 v[21:22], v[21:22], -v[33:34]
	v_add_f64 v[75:76], v[76:77], v[25:26]
	v_add_f64 v[19:20], v[19:20], -v[35:36]
	;; [unrolled: 3-line block ×3, first 2 shown]
	v_fma_f64 v[86:87], v[80:81], s[20:21], v[45:46]
	v_add_f64 v[51:52], v[51:52], v[53:54]
	v_fma_f64 v[53:54], v[37:38], s[22:23], v[49:50]
	v_add_f64 v[39:40], v[39:40], v[90:91]
	v_fma_f64 v[90:91], v[82:83], s[22:23], v[4:5]
	v_fma_f64 v[4:5], v[82:83], s[20:21], v[4:5]
	;; [unrolled: 1-line block ×4, first 2 shown]
	v_add_f64 v[59:60], v[59:60], v[61:62]
	v_fma_f64 v[61:62], v[88:89], s[20:21], v[6:7]
	v_fma_f64 v[6:7], v[88:89], s[22:23], v[6:7]
	v_add_f64 v[12:13], v[43:44], v[13:14]
	v_add_f64 v[71:72], v[71:72], v[73:74]
	v_fma_f64 v[73:74], v[21:22], s[20:21], v[55:56]
	v_add_f64 v[29:30], v[75:76], v[29:30]
	v_fma_f64 v[75:76], v[19:20], s[22:23], v[57:58]
	v_fma_f64 v[43:44], v[25:26], s[22:23], v[8:9]
	v_add_f64 v[27:28], v[77:78], v[27:28]
	v_fma_f64 v[77:78], v[23:24], s[20:21], v[10:11]
	v_fma_f64 v[8:9], v[25:26], s[20:21], v[8:9]
	;; [unrolled: 1-line block ×5, first 2 shown]
	v_add_f64 v[63:64], v[63:64], v[67:68]
	v_lshlrev_b64 v[67:68], 4, v[1:2]
	v_add_nc_u32_e32 v1, s26, v1
	v_add_f64 v[31:32], v[41:42], v[31:32]
	v_fma_f64 v[86:87], v[82:83], s[12:13], v[86:87]
	v_fma_f64 v[53:54], v[88:89], s[14:15], v[53:54]
	;; [unrolled: 1-line block ×4, first 2 shown]
	v_lshlrev_b64 v[41:42], 4, v[1:2]
	v_add_nc_u32_e32 v1, s26, v1
	v_fma_f64 v[45:46], v[82:83], s[14:15], v[45:46]
	v_fma_f64 v[49:50], v[88:89], s[12:13], v[49:50]
	v_lshlrev_b64 v[4:5], 4, v[47:48]
	s_delay_alu instid0(VALU_DEP_4) | instskip(SKIP_1) | instid1(VALU_DEP_3)
	v_lshlrev_b64 v[82:83], 4, v[1:2]
	v_add_nc_u32_e32 v1, s26, v1
	v_add_co_u32 v81, vcc_lo, s2, v4
	s_delay_alu instid0(VALU_DEP_2) | instskip(SKIP_4) | instid1(VALU_DEP_4)
	v_lshlrev_b64 v[92:93], 4, v[1:2]
	v_add_nc_u32_e32 v1, s26, v1
	v_add_co_ci_u32_e32 v109, vcc_lo, s3, v5, vcc_lo
	v_fma_f64 v[61:62], v[37:38], s[14:15], v[61:62]
	v_fma_f64 v[37:38], v[37:38], s[12:13], v[6:7]
	v_lshlrev_b64 v[88:89], 4, v[1:2]
	v_add_nc_u32_e32 v1, s26, v1
	v_fma_f64 v[73:74], v[25:26], s[12:13], v[73:74]
	v_add_f64 v[6:7], v[12:13], v[17:18]
	v_fma_f64 v[75:76], v[23:24], s[14:15], v[75:76]
	v_fma_f64 v[43:44], v[21:22], s[12:13], v[43:44]
	v_lshlrev_b64 v[94:95], 4, v[1:2]
	v_fma_f64 v[77:78], v[19:20], s[14:15], v[77:78]
	v_fma_f64 v[47:48], v[21:22], s[14:15], v[8:9]
	v_fma_f64 v[100:101], v[19:20], s[12:13], v[10:11]
	v_fma_f64 v[55:56], v[25:26], s[14:15], v[55:56]
	v_fma_f64 v[57:58], v[23:24], s[12:13], v[57:58]
	v_add_nc_u32_e32 v1, s26, v1
	v_add_f64 v[8:9], v[27:28], v[35:36]
	v_add_f64 v[10:11], v[29:30], v[33:34]
	;; [unrolled: 1-line block ×3, first 2 shown]
	v_fma_f64 v[12:13], v[65:66], s[0:1], v[86:87]
	v_lshlrev_b64 v[96:97], 4, v[1:2]
	v_add_nc_u32_e32 v1, s26, v1
	v_fma_f64 v[14:15], v[84:85], s[0:1], v[53:54]
	v_fma_f64 v[20:21], v[69:70], s[0:1], v[90:91]
	;; [unrolled: 1-line block ×4, first 2 shown]
	v_lshlrev_b64 v[98:99], 4, v[1:2]
	v_add_nc_u32_e32 v1, s26, v1
	v_fma_f64 v[18:19], v[84:85], s[0:1], v[49:50]
	v_add_co_u32 v45, vcc_lo, v81, v67
	v_add_co_ci_u32_e32 v46, vcc_lo, v109, v68, vcc_lo
	s_delay_alu instid0(VALU_DEP_4) | instskip(SKIP_3) | instid1(VALU_DEP_3)
	v_lshlrev_b64 v[102:103], 4, v[1:2]
	v_add_nc_u32_e32 v1, s26, v1
	v_fma_f64 v[22:23], v[39:40], s[0:1], v[61:62]
	v_fma_f64 v[26:27], v[39:40], s[0:1], v[37:38]
	v_lshlrev_b64 v[104:105], 4, v[1:2]
	v_add_co_u32 v40, vcc_lo, v81, v41
	v_fma_f64 v[0:1], v[51:52], s[0:1], v[73:74]
	v_fma_f64 v[34:35], v[63:64], s[0:1], v[75:76]
	v_fma_f64 v[30:31], v[59:60], s[0:1], v[43:44]
	v_add_co_ci_u32_e32 v41, vcc_lo, v109, v42, vcc_lo
	v_fma_f64 v[38:39], v[71:72], s[0:1], v[77:78]
	v_fma_f64 v[32:33], v[59:60], s[0:1], v[47:48]
	;; [unrolled: 1-line block ×5, first 2 shown]
	v_add_co_u32 v47, vcc_lo, v81, v82
	v_add_co_ci_u32_e32 v48, vcc_lo, v109, v83, vcc_lo
	v_add_co_u32 v49, vcc_lo, v81, v92
	ds_store_b128 v106, v[4:7]
	ds_store_b128 v3, v[12:15] offset:160
	ds_store_b128 v3, v[20:23] offset:320
	;; [unrolled: 1-line block ×5, first 2 shown]
	ds_store_2addr_b64 v106, v[0:1], v[34:35] offset0:30 offset1:31
	ds_store_2addr_b64 v106, v[30:31], v[38:39] offset0:50 offset1:51
	;; [unrolled: 1-line block ×4, first 2 shown]
	s_waitcnt lgkmcnt(0)
	s_barrier
	buffer_gl0_inv
	ds_load_b128 v[0:3], v107
	ds_load_b128 v[4:7], v108 offset:80
	ds_load_b128 v[8:11], v108 offset:160
	;; [unrolled: 1-line block ×9, first 2 shown]
	v_add_co_ci_u32_e32 v50, vcc_lo, v109, v93, vcc_lo
	v_add_co_u32 v51, vcc_lo, v81, v88
	v_add_co_ci_u32_e32 v52, vcc_lo, v109, v89, vcc_lo
	v_add_co_u32 v53, vcc_lo, v81, v94
	;; [unrolled: 2-line block ×6, first 2 shown]
	v_add_co_ci_u32_e32 v60, vcc_lo, v109, v105, vcc_lo
	s_waitcnt lgkmcnt(9)
	global_store_b128 v[45:46], v[0:3], off
	s_waitcnt lgkmcnt(8)
	global_store_b128 v[40:41], v[4:7], off
	;; [unrolled: 2-line block ×10, first 2 shown]
	s_nop 0
	s_sendmsg sendmsg(MSG_DEALLOC_VGPRS)
	s_endpgm
	.section	.rodata,"a",@progbits
	.p2align	6, 0x0
	.amdhsa_kernel fft_rtc_fwd_len50_factors_10_5_wgs_50_tpt_5_dp_op_CI_CI_sbrc_z_xy_aligned
		.amdhsa_group_segment_fixed_size 0
		.amdhsa_private_segment_fixed_size 0
		.amdhsa_kernarg_size 104
		.amdhsa_user_sgpr_count 15
		.amdhsa_user_sgpr_dispatch_ptr 0
		.amdhsa_user_sgpr_queue_ptr 0
		.amdhsa_user_sgpr_kernarg_segment_ptr 1
		.amdhsa_user_sgpr_dispatch_id 0
		.amdhsa_user_sgpr_private_segment_size 0
		.amdhsa_wavefront_size32 1
		.amdhsa_uses_dynamic_stack 0
		.amdhsa_enable_private_segment 0
		.amdhsa_system_sgpr_workgroup_id_x 1
		.amdhsa_system_sgpr_workgroup_id_y 0
		.amdhsa_system_sgpr_workgroup_id_z 0
		.amdhsa_system_sgpr_workgroup_info 0
		.amdhsa_system_vgpr_workitem_id 0
		.amdhsa_next_free_vgpr 110
		.amdhsa_next_free_sgpr 30
		.amdhsa_reserve_vcc 1
		.amdhsa_float_round_mode_32 0
		.amdhsa_float_round_mode_16_64 0
		.amdhsa_float_denorm_mode_32 3
		.amdhsa_float_denorm_mode_16_64 3
		.amdhsa_dx10_clamp 1
		.amdhsa_ieee_mode 1
		.amdhsa_fp16_overflow 0
		.amdhsa_workgroup_processor_mode 1
		.amdhsa_memory_ordered 1
		.amdhsa_forward_progress 0
		.amdhsa_shared_vgpr_count 0
		.amdhsa_exception_fp_ieee_invalid_op 0
		.amdhsa_exception_fp_denorm_src 0
		.amdhsa_exception_fp_ieee_div_zero 0
		.amdhsa_exception_fp_ieee_overflow 0
		.amdhsa_exception_fp_ieee_underflow 0
		.amdhsa_exception_fp_ieee_inexact 0
		.amdhsa_exception_int_div_zero 0
	.end_amdhsa_kernel
	.text
.Lfunc_end0:
	.size	fft_rtc_fwd_len50_factors_10_5_wgs_50_tpt_5_dp_op_CI_CI_sbrc_z_xy_aligned, .Lfunc_end0-fft_rtc_fwd_len50_factors_10_5_wgs_50_tpt_5_dp_op_CI_CI_sbrc_z_xy_aligned
                                        ; -- End function
	.section	.AMDGPU.csdata,"",@progbits
; Kernel info:
; codeLenInByte = 4808
; NumSgprs: 32
; NumVgprs: 110
; ScratchSize: 0
; MemoryBound: 0
; FloatMode: 240
; IeeeMode: 1
; LDSByteSize: 0 bytes/workgroup (compile time only)
; SGPRBlocks: 3
; VGPRBlocks: 13
; NumSGPRsForWavesPerEU: 32
; NumVGPRsForWavesPerEU: 110
; Occupancy: 12
; WaveLimiterHint : 1
; COMPUTE_PGM_RSRC2:SCRATCH_EN: 0
; COMPUTE_PGM_RSRC2:USER_SGPR: 15
; COMPUTE_PGM_RSRC2:TRAP_HANDLER: 0
; COMPUTE_PGM_RSRC2:TGID_X_EN: 1
; COMPUTE_PGM_RSRC2:TGID_Y_EN: 0
; COMPUTE_PGM_RSRC2:TGID_Z_EN: 0
; COMPUTE_PGM_RSRC2:TIDIG_COMP_CNT: 0
	.text
	.p2alignl 7, 3214868480
	.fill 96, 4, 3214868480
	.type	__hip_cuid_3f19b25f17f143a9,@object ; @__hip_cuid_3f19b25f17f143a9
	.section	.bss,"aw",@nobits
	.globl	__hip_cuid_3f19b25f17f143a9
__hip_cuid_3f19b25f17f143a9:
	.byte	0                               ; 0x0
	.size	__hip_cuid_3f19b25f17f143a9, 1

	.ident	"AMD clang version 19.0.0git (https://github.com/RadeonOpenCompute/llvm-project roc-6.4.0 25133 c7fe45cf4b819c5991fe208aaa96edf142730f1d)"
	.section	".note.GNU-stack","",@progbits
	.addrsig
	.addrsig_sym __hip_cuid_3f19b25f17f143a9
	.amdgpu_metadata
---
amdhsa.kernels:
  - .args:
      - .actual_access:  read_only
        .address_space:  global
        .offset:         0
        .size:           8
        .value_kind:     global_buffer
      - .offset:         8
        .size:           8
        .value_kind:     by_value
      - .actual_access:  read_only
        .address_space:  global
        .offset:         16
        .size:           8
        .value_kind:     global_buffer
      - .actual_access:  read_only
        .address_space:  global
        .offset:         24
        .size:           8
        .value_kind:     global_buffer
      - .actual_access:  read_only
        .address_space:  global
        .offset:         32
        .size:           8
        .value_kind:     global_buffer
      - .offset:         40
        .size:           8
        .value_kind:     by_value
      - .actual_access:  read_only
        .address_space:  global
        .offset:         48
        .size:           8
        .value_kind:     global_buffer
      - .actual_access:  read_only
        .address_space:  global
        .offset:         56
        .size:           8
        .value_kind:     global_buffer
      - .offset:         64
        .size:           4
        .value_kind:     by_value
      - .actual_access:  read_only
        .address_space:  global
        .offset:         72
        .size:           8
        .value_kind:     global_buffer
      - .actual_access:  read_only
        .address_space:  global
        .offset:         80
        .size:           8
        .value_kind:     global_buffer
      - .actual_access:  read_only
        .address_space:  global
        .offset:         88
        .size:           8
        .value_kind:     global_buffer
      - .actual_access:  write_only
        .address_space:  global
        .offset:         96
        .size:           8
        .value_kind:     global_buffer
    .group_segment_fixed_size: 0
    .kernarg_segment_align: 8
    .kernarg_segment_size: 104
    .language:       OpenCL C
    .language_version:
      - 2
      - 0
    .max_flat_workgroup_size: 50
    .name:           fft_rtc_fwd_len50_factors_10_5_wgs_50_tpt_5_dp_op_CI_CI_sbrc_z_xy_aligned
    .private_segment_fixed_size: 0
    .sgpr_count:     32
    .sgpr_spill_count: 0
    .symbol:         fft_rtc_fwd_len50_factors_10_5_wgs_50_tpt_5_dp_op_CI_CI_sbrc_z_xy_aligned.kd
    .uniform_work_group_size: 1
    .uses_dynamic_stack: false
    .vgpr_count:     110
    .vgpr_spill_count: 0
    .wavefront_size: 32
    .workgroup_processor_mode: 1
amdhsa.target:   amdgcn-amd-amdhsa--gfx1100
amdhsa.version:
  - 1
  - 2
...

	.end_amdgpu_metadata
